;; amdgpu-corpus repo=ROCm/rocFFT kind=compiled arch=gfx906 opt=O3
	.text
	.amdgcn_target "amdgcn-amd-amdhsa--gfx906"
	.amdhsa_code_object_version 6
	.protected	fft_rtc_fwd_len1280_factors_16_5_16_wgs_80_tpt_80_halfLds_sp_op_CI_CI_unitstride_sbrr_C2R_dirReg ; -- Begin function fft_rtc_fwd_len1280_factors_16_5_16_wgs_80_tpt_80_halfLds_sp_op_CI_CI_unitstride_sbrr_C2R_dirReg
	.globl	fft_rtc_fwd_len1280_factors_16_5_16_wgs_80_tpt_80_halfLds_sp_op_CI_CI_unitstride_sbrr_C2R_dirReg
	.p2align	8
	.type	fft_rtc_fwd_len1280_factors_16_5_16_wgs_80_tpt_80_halfLds_sp_op_CI_CI_unitstride_sbrr_C2R_dirReg,@function
fft_rtc_fwd_len1280_factors_16_5_16_wgs_80_tpt_80_halfLds_sp_op_CI_CI_unitstride_sbrr_C2R_dirReg: ; @fft_rtc_fwd_len1280_factors_16_5_16_wgs_80_tpt_80_halfLds_sp_op_CI_CI_unitstride_sbrr_C2R_dirReg
; %bb.0:
	s_load_dwordx4 s[8:11], s[4:5], 0x58
	s_load_dwordx4 s[12:15], s[4:5], 0x0
	;; [unrolled: 1-line block ×3, first 2 shown]
	v_mul_u32_u24_e32 v1, 0x334, v0
	v_add_u32_sdwa v5, s6, v1 dst_sel:DWORD dst_unused:UNUSED_PAD src0_sel:DWORD src1_sel:WORD_1
	v_mov_b32_e32 v3, 0
	s_waitcnt lgkmcnt(0)
	v_cmp_lt_u64_e64 s[0:1], s[14:15], 2
	v_mov_b32_e32 v1, 0
	v_mov_b32_e32 v6, v3
	s_and_b64 vcc, exec, s[0:1]
	v_mov_b32_e32 v2, 0
	s_cbranch_vccnz .LBB0_8
; %bb.1:
	s_load_dwordx2 s[0:1], s[4:5], 0x10
	s_add_u32 s2, s18, 8
	s_addc_u32 s3, s19, 0
	s_add_u32 s6, s16, 8
	v_mov_b32_e32 v1, 0
	s_addc_u32 s7, s17, 0
	v_mov_b32_e32 v2, 0
	s_waitcnt lgkmcnt(0)
	s_add_u32 s20, s0, 8
	v_mov_b32_e32 v37, v2
	s_addc_u32 s21, s1, 0
	s_mov_b64 s[22:23], 1
	v_mov_b32_e32 v36, v1
.LBB0_2:                                ; =>This Inner Loop Header: Depth=1
	s_load_dwordx2 s[24:25], s[20:21], 0x0
                                        ; implicit-def: $vgpr40_vgpr41
	s_waitcnt lgkmcnt(0)
	v_or_b32_e32 v4, s25, v6
	v_cmp_ne_u64_e32 vcc, 0, v[3:4]
	s_and_saveexec_b64 s[0:1], vcc
	s_xor_b64 s[26:27], exec, s[0:1]
	s_cbranch_execz .LBB0_4
; %bb.3:                                ;   in Loop: Header=BB0_2 Depth=1
	v_cvt_f32_u32_e32 v4, s24
	v_cvt_f32_u32_e32 v7, s25
	s_sub_u32 s0, 0, s24
	s_subb_u32 s1, 0, s25
	v_mac_f32_e32 v4, 0x4f800000, v7
	v_rcp_f32_e32 v4, v4
	v_mul_f32_e32 v4, 0x5f7ffffc, v4
	v_mul_f32_e32 v7, 0x2f800000, v4
	v_trunc_f32_e32 v7, v7
	v_mac_f32_e32 v4, 0xcf800000, v7
	v_cvt_u32_f32_e32 v7, v7
	v_cvt_u32_f32_e32 v4, v4
	v_mul_lo_u32 v8, s0, v7
	v_mul_hi_u32 v9, s0, v4
	v_mul_lo_u32 v11, s1, v4
	v_mul_lo_u32 v10, s0, v4
	v_add_u32_e32 v8, v9, v8
	v_add_u32_e32 v8, v8, v11
	v_mul_hi_u32 v9, v4, v10
	v_mul_lo_u32 v11, v4, v8
	v_mul_hi_u32 v13, v4, v8
	v_mul_hi_u32 v12, v7, v10
	v_mul_lo_u32 v10, v7, v10
	v_mul_hi_u32 v14, v7, v8
	v_add_co_u32_e32 v9, vcc, v9, v11
	v_addc_co_u32_e32 v11, vcc, 0, v13, vcc
	v_mul_lo_u32 v8, v7, v8
	v_add_co_u32_e32 v9, vcc, v9, v10
	v_addc_co_u32_e32 v9, vcc, v11, v12, vcc
	v_addc_co_u32_e32 v10, vcc, 0, v14, vcc
	v_add_co_u32_e32 v8, vcc, v9, v8
	v_addc_co_u32_e32 v9, vcc, 0, v10, vcc
	v_add_co_u32_e32 v4, vcc, v4, v8
	v_addc_co_u32_e32 v7, vcc, v7, v9, vcc
	v_mul_lo_u32 v8, s0, v7
	v_mul_hi_u32 v9, s0, v4
	v_mul_lo_u32 v10, s1, v4
	v_mul_lo_u32 v11, s0, v4
	v_add_u32_e32 v8, v9, v8
	v_add_u32_e32 v8, v8, v10
	v_mul_lo_u32 v12, v4, v8
	v_mul_hi_u32 v13, v4, v11
	v_mul_hi_u32 v14, v4, v8
	v_mul_hi_u32 v10, v7, v11
	v_mul_lo_u32 v11, v7, v11
	v_mul_hi_u32 v9, v7, v8
	v_add_co_u32_e32 v12, vcc, v13, v12
	v_addc_co_u32_e32 v13, vcc, 0, v14, vcc
	v_mul_lo_u32 v8, v7, v8
	v_add_co_u32_e32 v11, vcc, v12, v11
	v_addc_co_u32_e32 v10, vcc, v13, v10, vcc
	v_addc_co_u32_e32 v9, vcc, 0, v9, vcc
	v_add_co_u32_e32 v8, vcc, v10, v8
	v_addc_co_u32_e32 v9, vcc, 0, v9, vcc
	v_add_co_u32_e32 v4, vcc, v4, v8
	v_addc_co_u32_e32 v9, vcc, v7, v9, vcc
	v_mad_u64_u32 v[7:8], s[0:1], v5, v9, 0
	v_mul_hi_u32 v10, v5, v4
	v_add_co_u32_e32 v11, vcc, v10, v7
	v_addc_co_u32_e32 v12, vcc, 0, v8, vcc
	v_mad_u64_u32 v[7:8], s[0:1], v6, v4, 0
	v_mad_u64_u32 v[9:10], s[0:1], v6, v9, 0
	v_add_co_u32_e32 v4, vcc, v11, v7
	v_addc_co_u32_e32 v4, vcc, v12, v8, vcc
	v_addc_co_u32_e32 v7, vcc, 0, v10, vcc
	v_add_co_u32_e32 v4, vcc, v4, v9
	v_addc_co_u32_e32 v9, vcc, 0, v7, vcc
	v_mul_lo_u32 v10, s25, v4
	v_mul_lo_u32 v11, s24, v9
	v_mad_u64_u32 v[7:8], s[0:1], s24, v4, 0
	v_add3_u32 v8, v8, v11, v10
	v_sub_u32_e32 v10, v6, v8
	v_mov_b32_e32 v11, s25
	v_sub_co_u32_e32 v7, vcc, v5, v7
	v_subb_co_u32_e64 v10, s[0:1], v10, v11, vcc
	v_subrev_co_u32_e64 v11, s[0:1], s24, v7
	v_subbrev_co_u32_e64 v10, s[0:1], 0, v10, s[0:1]
	v_cmp_le_u32_e64 s[0:1], s25, v10
	v_cndmask_b32_e64 v12, 0, -1, s[0:1]
	v_cmp_le_u32_e64 s[0:1], s24, v11
	v_cndmask_b32_e64 v11, 0, -1, s[0:1]
	v_cmp_eq_u32_e64 s[0:1], s25, v10
	v_cndmask_b32_e64 v10, v12, v11, s[0:1]
	v_add_co_u32_e64 v11, s[0:1], 2, v4
	v_addc_co_u32_e64 v12, s[0:1], 0, v9, s[0:1]
	v_add_co_u32_e64 v13, s[0:1], 1, v4
	v_addc_co_u32_e64 v14, s[0:1], 0, v9, s[0:1]
	v_subb_co_u32_e32 v8, vcc, v6, v8, vcc
	v_cmp_ne_u32_e64 s[0:1], 0, v10
	v_cmp_le_u32_e32 vcc, s25, v8
	v_cndmask_b32_e64 v10, v14, v12, s[0:1]
	v_cndmask_b32_e64 v12, 0, -1, vcc
	v_cmp_le_u32_e32 vcc, s24, v7
	v_cndmask_b32_e64 v7, 0, -1, vcc
	v_cmp_eq_u32_e32 vcc, s25, v8
	v_cndmask_b32_e32 v7, v12, v7, vcc
	v_cmp_ne_u32_e32 vcc, 0, v7
	v_cndmask_b32_e64 v7, v13, v11, s[0:1]
	v_cndmask_b32_e32 v41, v9, v10, vcc
	v_cndmask_b32_e32 v40, v4, v7, vcc
.LBB0_4:                                ;   in Loop: Header=BB0_2 Depth=1
	s_andn2_saveexec_b64 s[0:1], s[26:27]
	s_cbranch_execz .LBB0_6
; %bb.5:                                ;   in Loop: Header=BB0_2 Depth=1
	v_cvt_f32_u32_e32 v4, s24
	s_sub_i32 s26, 0, s24
	v_mov_b32_e32 v41, v3
	v_rcp_iflag_f32_e32 v4, v4
	v_mul_f32_e32 v4, 0x4f7ffffe, v4
	v_cvt_u32_f32_e32 v4, v4
	v_mul_lo_u32 v7, s26, v4
	v_mul_hi_u32 v7, v4, v7
	v_add_u32_e32 v4, v4, v7
	v_mul_hi_u32 v4, v5, v4
	v_mul_lo_u32 v7, v4, s24
	v_add_u32_e32 v8, 1, v4
	v_sub_u32_e32 v7, v5, v7
	v_subrev_u32_e32 v9, s24, v7
	v_cmp_le_u32_e32 vcc, s24, v7
	v_cndmask_b32_e32 v7, v7, v9, vcc
	v_cndmask_b32_e32 v4, v4, v8, vcc
	v_add_u32_e32 v8, 1, v4
	v_cmp_le_u32_e32 vcc, s24, v7
	v_cndmask_b32_e32 v40, v4, v8, vcc
.LBB0_6:                                ;   in Loop: Header=BB0_2 Depth=1
	s_or_b64 exec, exec, s[0:1]
	v_mul_lo_u32 v4, v41, s24
	v_mul_lo_u32 v9, v40, s25
	v_mad_u64_u32 v[7:8], s[0:1], v40, s24, 0
	s_load_dwordx2 s[0:1], s[6:7], 0x0
	s_load_dwordx2 s[24:25], s[2:3], 0x0
	v_add3_u32 v4, v8, v9, v4
	v_sub_co_u32_e32 v5, vcc, v5, v7
	v_subb_co_u32_e32 v4, vcc, v6, v4, vcc
	s_waitcnt lgkmcnt(0)
	v_mul_lo_u32 v6, s0, v4
	v_mul_lo_u32 v7, s1, v5
	v_mad_u64_u32 v[1:2], s[0:1], s0, v5, v[1:2]
	v_mul_lo_u32 v4, s24, v4
	v_mul_lo_u32 v8, s25, v5
	v_mad_u64_u32 v[36:37], s[0:1], s24, v5, v[36:37]
	s_add_u32 s22, s22, 1
	s_addc_u32 s23, s23, 0
	s_add_u32 s2, s2, 8
	v_add3_u32 v37, v8, v37, v4
	s_addc_u32 s3, s3, 0
	v_mov_b32_e32 v4, s14
	s_add_u32 s6, s6, 8
	v_mov_b32_e32 v5, s15
	s_addc_u32 s7, s7, 0
	v_cmp_ge_u64_e32 vcc, s[22:23], v[4:5]
	s_add_u32 s20, s20, 8
	v_add3_u32 v2, v7, v2, v6
	s_addc_u32 s21, s21, 0
	s_cbranch_vccnz .LBB0_9
; %bb.7:                                ;   in Loop: Header=BB0_2 Depth=1
	v_mov_b32_e32 v5, v40
	v_mov_b32_e32 v6, v41
	s_branch .LBB0_2
.LBB0_8:
	v_mov_b32_e32 v37, v2
	v_mov_b32_e32 v41, v6
	;; [unrolled: 1-line block ×4, first 2 shown]
.LBB0_9:
	s_load_dwordx2 s[4:5], s[4:5], 0x28
	s_lshl_b64 s[6:7], s[14:15], 3
	s_add_u32 s2, s18, s6
	s_addc_u32 s3, s19, s7
                                        ; implicit-def: $vgpr38
	s_waitcnt lgkmcnt(0)
	v_cmp_gt_u64_e64 s[0:1], s[4:5], v[40:41]
	v_cmp_le_u64_e32 vcc, s[4:5], v[40:41]
	s_and_saveexec_b64 s[4:5], vcc
	s_xor_b64 s[4:5], exec, s[4:5]
; %bb.10:
	s_mov_b32 s14, 0x3333334
	v_mul_hi_u32 v1, v0, s14
	v_mul_u32_u24_e32 v1, 0x50, v1
	v_sub_u32_e32 v38, v0, v1
                                        ; implicit-def: $vgpr0
                                        ; implicit-def: $vgpr1_vgpr2
; %bb.11:
	s_or_saveexec_b64 s[4:5], s[4:5]
	s_load_dwordx2 s[2:3], s[2:3], 0x0
	s_xor_b64 exec, exec, s[4:5]
	s_cbranch_execz .LBB0_15
; %bb.12:
	s_add_u32 s6, s16, s6
	s_addc_u32 s7, s17, s7
	s_load_dwordx2 s[6:7], s[6:7], 0x0
	s_mov_b32 s14, 0x3333334
	v_mul_hi_u32 v5, v0, s14
	v_lshlrev_b64 v[1:2], 3, v[1:2]
	s_waitcnt lgkmcnt(0)
	v_mul_lo_u32 v6, s7, v40
	v_mul_lo_u32 v7, s6, v41
	v_mad_u64_u32 v[3:4], s[6:7], s6, v40, 0
	v_mul_u32_u24_e32 v5, 0x50, v5
	v_sub_u32_e32 v38, v0, v5
	v_add3_u32 v4, v4, v7, v6
	v_lshlrev_b64 v[3:4], 3, v[3:4]
	v_mov_b32_e32 v0, s9
	v_add_co_u32_e32 v3, vcc, s8, v3
	v_addc_co_u32_e32 v0, vcc, v0, v4, vcc
	v_add_co_u32_e32 v1, vcc, v3, v1
	v_addc_co_u32_e32 v0, vcc, v0, v2, vcc
	v_lshlrev_b32_e32 v39, 3, v38
	v_add_co_u32_e32 v2, vcc, v1, v39
	v_addc_co_u32_e32 v3, vcc, 0, v0, vcc
	s_movk_i32 s6, 0x1000
	v_add_co_u32_e32 v4, vcc, s6, v2
	v_addc_co_u32_e32 v5, vcc, 0, v3, vcc
	global_load_dwordx2 v[6:7], v[2:3], off offset:2560
	global_load_dwordx2 v[8:9], v[2:3], off offset:3200
	;; [unrolled: 1-line block ×4, first 2 shown]
	global_load_dwordx2 v[14:15], v[2:3], off
	global_load_dwordx2 v[16:17], v[2:3], off offset:640
	global_load_dwordx2 v[18:19], v[2:3], off offset:1280
	;; [unrolled: 1-line block ×3, first 2 shown]
	v_add_co_u32_e32 v2, vcc, 0x2000, v2
	v_or_b32_e32 v22, 0x1400, v39
	v_addc_co_u32_e32 v3, vcc, 0, v3, vcc
	v_add_co_u32_e32 v22, vcc, v1, v22
	v_addc_co_u32_e32 v23, vcc, 0, v0, vcc
	global_load_dwordx2 v[24:25], v[4:5], off offset:1664
	global_load_dwordx2 v[26:27], v[4:5], off offset:2304
	;; [unrolled: 1-line block ×4, first 2 shown]
	global_load_dwordx2 v[32:33], v[22:23], off
	global_load_dwordx2 v[34:35], v[2:3], off offset:128
	global_load_dwordx2 v[42:43], v[2:3], off offset:768
	;; [unrolled: 1-line block ×3, first 2 shown]
	s_movk_i32 s6, 0x4f
	v_add_u32_e32 v2, 0, v39
	v_cmp_eq_u32_e32 vcc, s6, v38
	v_add_u32_e32 v3, 0x800, v2
	v_add_u32_e32 v4, 0xc00, v2
	v_add_u32_e32 v5, 0x1000, v2
	v_add_u32_e32 v22, 0x1800, v2
	v_add_u32_e32 v23, 0x1c00, v2
	v_add_u32_e32 v39, 0x2000, v2
	s_waitcnt vmcnt(10)
	ds_write2_b64 v2, v[14:15], v[16:17] offset1:80
	ds_write2_b64 v3, v[6:7], v[8:9] offset0:64 offset1:144
	s_waitcnt vmcnt(8)
	ds_write2_b64 v2, v[18:19], v[20:21] offset0:160 offset1:240
	ds_write2_b64 v4, v[10:11], v[12:13] offset0:96 offset1:176
	s_waitcnt vmcnt(3)
	ds_write2_b64 v5, v[32:33], v[24:25] offset0:128 offset1:208
	;; [unrolled: 3-line block ×3, first 2 shown]
	s_waitcnt vmcnt(0)
	ds_write2_b64 v39, v[42:43], v[44:45] offset0:96 offset1:176
	s_and_saveexec_b64 s[6:7], vcc
	s_cbranch_execz .LBB0_14
; %bb.13:
	v_add_co_u32_e32 v1, vcc, 0x2000, v1
	v_addc_co_u32_e32 v2, vcc, 0, v0, vcc
	global_load_dwordx2 v[0:1], v[1:2], off offset:2048
	v_mov_b32_e32 v2, 0
	v_mov_b32_e32 v38, 0x4f
	s_waitcnt vmcnt(0)
	ds_write_b64 v2, v[0:1] offset:10240
.LBB0_14:
	s_or_b64 exec, exec, s[6:7]
.LBB0_15:
	s_or_b64 exec, exec, s[4:5]
	v_lshlrev_b32_e32 v0, 3, v38
	v_add_u32_e32 v60, 0, v0
	s_waitcnt lgkmcnt(0)
	s_barrier
	v_sub_u32_e32 v4, 0, v0
	ds_read_b32 v5, v60
	ds_read_b32 v6, v4 offset:10240
	s_add_u32 s6, s12, 0x2780
	s_addc_u32 s7, s13, 0
	v_cmp_ne_u32_e32 vcc, 0, v38
                                        ; implicit-def: $vgpr2_vgpr3
	s_waitcnt lgkmcnt(0)
	v_add_f32_e32 v0, v6, v5
	v_sub_f32_e32 v1, v5, v6
	s_and_saveexec_b64 s[4:5], vcc
	s_xor_b64 s[4:5], exec, s[4:5]
	s_cbranch_execz .LBB0_17
; %bb.16:
	v_mov_b32_e32 v39, 0
	v_lshlrev_b64 v[0:1], 3, v[38:39]
	v_mov_b32_e32 v2, s7
	v_add_co_u32_e32 v0, vcc, s6, v0
	v_addc_co_u32_e32 v1, vcc, v2, v1, vcc
	global_load_dwordx2 v[2:3], v[0:1], off
	ds_read_b32 v0, v4 offset:10244
	ds_read_b32 v1, v60 offset:4
	v_add_f32_e32 v7, v6, v5
	v_sub_f32_e32 v8, v5, v6
	s_waitcnt lgkmcnt(0)
	v_add_f32_e32 v9, v0, v1
	v_sub_f32_e32 v0, v1, v0
	s_waitcnt vmcnt(0)
	v_fma_f32 v10, v8, v3, v7
	v_fma_f32 v1, v9, v3, v0
	v_fma_f32 v5, -v8, v3, v7
	v_fma_f32 v6, v9, v3, -v0
	v_fma_f32 v0, -v2, v9, v10
	v_fmac_f32_e32 v1, v8, v2
	v_fmac_f32_e32 v5, v2, v9
	;; [unrolled: 1-line block ×3, first 2 shown]
	v_mov_b32_e32 v2, v38
	ds_write_b64 v4, v[5:6] offset:10240
	v_mov_b32_e32 v3, v39
.LBB0_17:
	s_andn2_saveexec_b64 s[4:5], s[4:5]
	s_cbranch_execz .LBB0_19
; %bb.18:
	v_mov_b32_e32 v7, 0
	ds_read_b64 v[2:3], v7 offset:5120
	s_waitcnt lgkmcnt(0)
	v_add_f32_e32 v5, v2, v2
	v_mul_f32_e32 v6, -2.0, v3
	v_mov_b32_e32 v2, 0
	v_mov_b32_e32 v3, 0
	ds_write_b64 v7, v[5:6] offset:5120
.LBB0_19:
	s_or_b64 exec, exec, s[4:5]
	v_lshlrev_b64 v[2:3], 3, v[2:3]
	v_mov_b32_e32 v5, s7
	v_add_co_u32_e32 v2, vcc, s6, v2
	v_addc_co_u32_e32 v3, vcc, v5, v3, vcc
	global_load_dwordx2 v[5:6], v[2:3], off offset:640
	global_load_dwordx2 v[7:8], v[2:3], off offset:1280
	;; [unrolled: 1-line block ×4, first 2 shown]
	ds_write_b64 v60, v[0:1]
	ds_read_b64 v[0:1], v60 offset:640
	ds_read_b64 v[13:14], v4 offset:9600
	global_load_dwordx2 v[15:16], v[2:3], off offset:3200
	s_movk_i32 s4, 0x1000
	v_add_u32_e32 v30, 0x1800, v60
	v_add_u32_e32 v24, 0x800, v60
	s_waitcnt lgkmcnt(0)
	v_add_f32_e32 v17, v0, v13
	v_add_f32_e32 v18, v14, v1
	v_sub_f32_e32 v19, v0, v13
	v_sub_f32_e32 v0, v1, v14
	v_add_u32_e32 v35, 0x2000, v60
	s_waitcnt vmcnt(4)
	v_fma_f32 v20, v19, v6, v17
	v_fma_f32 v1, v18, v6, v0
	v_fma_f32 v13, -v19, v6, v17
	v_fma_f32 v14, v18, v6, -v0
	v_fma_f32 v0, -v5, v18, v20
	v_fmac_f32_e32 v1, v19, v5
	v_fmac_f32_e32 v13, v5, v18
	;; [unrolled: 1-line block ×3, first 2 shown]
	ds_write_b64 v60, v[0:1] offset:640
	ds_write_b64 v4, v[13:14] offset:9600
	ds_read_b64 v[0:1], v60 offset:1280
	ds_read_b64 v[5:6], v4 offset:8960
	global_load_dwordx2 v[13:14], v[2:3], off offset:3840
	v_add_co_u32_e32 v2, vcc, s4, v2
	v_addc_co_u32_e32 v3, vcc, 0, v3, vcc
	s_waitcnt lgkmcnt(0)
	v_add_f32_e32 v17, v0, v5
	v_add_f32_e32 v18, v6, v1
	v_sub_f32_e32 v19, v0, v5
	v_sub_f32_e32 v0, v1, v6
	s_waitcnt vmcnt(4)
	v_fma_f32 v20, v19, v8, v17
	v_fma_f32 v1, v18, v8, v0
	v_fma_f32 v5, -v19, v8, v17
	v_fma_f32 v6, v18, v8, -v0
	v_fma_f32 v0, -v7, v18, v20
	v_fmac_f32_e32 v1, v19, v7
	v_fmac_f32_e32 v5, v7, v18
	;; [unrolled: 1-line block ×3, first 2 shown]
	ds_write_b64 v60, v[0:1] offset:1280
	ds_write_b64 v4, v[5:6] offset:8960
	ds_read_b64 v[0:1], v60 offset:1920
	ds_read_b64 v[5:6], v4 offset:8320
	global_load_dwordx2 v[2:3], v[2:3], off offset:384
	v_add_u32_e32 v20, 0x1000, v60
	s_movk_i32 s4, 0x78
	v_cmp_gt_u32_e32 vcc, 16, v38
	s_waitcnt lgkmcnt(0)
	v_add_f32_e32 v7, v0, v5
	v_add_f32_e32 v8, v6, v1
	v_sub_f32_e32 v17, v0, v5
	v_sub_f32_e32 v0, v1, v6
	s_waitcnt vmcnt(4)
	v_fma_f32 v18, v17, v10, v7
	v_fma_f32 v1, v8, v10, v0
	v_fma_f32 v5, -v17, v10, v7
	v_fma_f32 v6, v8, v10, -v0
	v_fma_f32 v0, -v9, v8, v18
	v_fmac_f32_e32 v1, v17, v9
	v_fmac_f32_e32 v5, v9, v8
	v_fmac_f32_e32 v6, v17, v9
	ds_write_b64 v60, v[0:1] offset:1920
	ds_write_b64 v4, v[5:6] offset:8320
	ds_read_b64 v[0:1], v60 offset:2560
	ds_read_b64 v[5:6], v4 offset:7680
	s_waitcnt lgkmcnt(0)
	v_add_f32_e32 v7, v0, v5
	v_add_f32_e32 v8, v6, v1
	v_sub_f32_e32 v9, v0, v5
	v_sub_f32_e32 v0, v1, v6
	s_waitcnt vmcnt(3)
	v_fma_f32 v10, v9, v12, v7
	v_fma_f32 v1, v8, v12, v0
	v_fma_f32 v5, -v9, v12, v7
	v_fma_f32 v6, v8, v12, -v0
	v_fma_f32 v0, -v11, v8, v10
	v_fmac_f32_e32 v1, v9, v11
	v_fmac_f32_e32 v5, v11, v8
	v_fmac_f32_e32 v6, v9, v11
	ds_write_b64 v60, v[0:1] offset:2560
	ds_write_b64 v4, v[5:6] offset:7680
	ds_read_b64 v[0:1], v60 offset:3200
	ds_read_b64 v[5:6], v4 offset:7040
	s_waitcnt lgkmcnt(0)
	v_add_f32_e32 v7, v0, v5
	v_add_f32_e32 v8, v6, v1
	v_sub_f32_e32 v9, v0, v5
	v_sub_f32_e32 v0, v1, v6
	s_waitcnt vmcnt(2)
	v_fma_f32 v10, v9, v16, v7
	v_fma_f32 v1, v8, v16, v0
	v_fma_f32 v5, -v9, v16, v7
	v_fma_f32 v6, v8, v16, -v0
	v_fma_f32 v0, -v15, v8, v10
	v_fmac_f32_e32 v1, v9, v15
	v_fmac_f32_e32 v5, v15, v8
	v_fmac_f32_e32 v6, v9, v15
	ds_write_b64 v60, v[0:1] offset:3200
	ds_write_b64 v4, v[5:6] offset:7040
	ds_read_b64 v[0:1], v60 offset:3840
	ds_read_b64 v[5:6], v4 offset:6400
	v_add_u32_e32 v16, 0x1c00, v60
	s_waitcnt lgkmcnt(0)
	v_add_f32_e32 v7, v0, v5
	v_add_f32_e32 v8, v6, v1
	v_sub_f32_e32 v9, v0, v5
	v_sub_f32_e32 v0, v1, v6
	s_waitcnt vmcnt(1)
	v_fma_f32 v10, v9, v14, v7
	v_fma_f32 v1, v8, v14, v0
	v_fma_f32 v5, -v9, v14, v7
	v_fma_f32 v6, v8, v14, -v0
	v_fma_f32 v0, -v13, v8, v10
	v_fmac_f32_e32 v1, v9, v13
	v_fmac_f32_e32 v5, v13, v8
	;; [unrolled: 1-line block ×3, first 2 shown]
	ds_write_b64 v60, v[0:1] offset:3840
	ds_write_b64 v4, v[5:6] offset:6400
	ds_read_b64 v[0:1], v60 offset:4480
	ds_read_b64 v[5:6], v4 offset:5760
	s_waitcnt lgkmcnt(0)
	v_add_f32_e32 v7, v0, v5
	v_add_f32_e32 v8, v6, v1
	v_sub_f32_e32 v9, v0, v5
	v_sub_f32_e32 v0, v1, v6
	s_waitcnt vmcnt(0)
	v_fma_f32 v10, v9, v3, v7
	v_fma_f32 v1, v8, v3, v0
	v_fma_f32 v5, -v9, v3, v7
	v_fma_f32 v6, v8, v3, -v0
	v_fma_f32 v0, -v2, v8, v10
	v_fmac_f32_e32 v1, v9, v2
	v_fmac_f32_e32 v5, v2, v8
	;; [unrolled: 1-line block ×3, first 2 shown]
	ds_write_b64 v60, v[0:1] offset:4480
	ds_write_b64 v4, v[5:6] offset:5760
	s_waitcnt lgkmcnt(0)
	s_barrier
	s_barrier
	ds_read2_b64 v[0:3], v60 offset1:80
	ds_read2_b64 v[4:7], v60 offset0:160 offset1:240
	ds_read2_b64 v[8:11], v20 offset0:128 offset1:208
	;; [unrolled: 1-line block ×4, first 2 shown]
	s_waitcnt lgkmcnt(2)
	v_sub_f32_e32 v21, v0, v8
	v_sub_f32_e32 v22, v1, v9
	;; [unrolled: 1-line block ×4, first 2 shown]
	v_fma_f32 v26, v0, 2.0, -v21
	v_fma_f32 v27, v1, 2.0, -v22
	;; [unrolled: 1-line block ×4, first 2 shown]
	ds_read2_b64 v[0:3], v30 offset0:32 offset1:112
	s_waitcnt lgkmcnt(1)
	v_sub_f32_e32 v16, v12, v16
	v_sub_f32_e32 v17, v13, v17
	v_fma_f32 v12, v12, 2.0, -v16
	v_add_f32_e32 v16, v22, v16
	s_waitcnt lgkmcnt(0)
	v_sub_f32_e32 v31, v4, v0
	v_add_u32_e32 v0, 0xc00, v60
	v_sub_f32_e32 v32, v5, v1
	v_sub_f32_e32 v33, v6, v2
	;; [unrolled: 1-line block ×3, first 2 shown]
	ds_read2_b64 v[0:3], v0 offset0:96 offset1:176
	ds_read2_b64 v[8:11], v35 offset0:96 offset1:176
	v_fma_f32 v13, v13, 2.0, -v17
	v_sub_f32_e32 v17, v21, v17
	v_fma_f32 v22, v22, 2.0, -v16
	v_sub_f32_e32 v18, v14, v18
	s_waitcnt lgkmcnt(0)
	v_sub_f32_e32 v8, v0, v8
	v_sub_f32_e32 v9, v1, v9
	v_fma_f32 v1, v1, 2.0, -v9
	v_sub_f32_e32 v9, v31, v9
	v_add_f32_e32 v39, v32, v8
	v_sub_f32_e32 v19, v15, v19
	v_fma_f32 v4, v4, 2.0, -v31
	v_fma_f32 v0, v0, 2.0, -v8
	;; [unrolled: 1-line block ×5, first 2 shown]
	v_mov_b32_e32 v42, v22
	v_fma_f32 v14, v14, 2.0, -v18
	v_fma_f32 v15, v15, 2.0, -v19
	;; [unrolled: 1-line block ×3, first 2 shown]
	v_sub_f32_e32 v10, v2, v10
	v_mov_b32_e32 v32, v21
	v_fmac_f32_e32 v42, 0xbf3504f3, v31
	v_sub_f32_e32 v19, v23, v19
	v_add_f32_e32 v18, v25, v18
	v_sub_f32_e32 v11, v3, v11
	v_fma_f32 v2, v2, 2.0, -v10
	v_fmac_f32_e32 v32, 0xbf3504f3, v8
	v_fmac_f32_e32 v42, 0x3f3504f3, v8
	v_fma_f32 v8, v23, 2.0, -v19
	v_fma_f32 v23, v25, 2.0, -v18
	v_add_f32_e32 v10, v34, v10
	v_fma_f32 v7, v7, 2.0, -v34
	v_fma_f32 v3, v3, 2.0, -v11
	v_fmac_f32_e32 v32, 0xbf3504f3, v31
	v_sub_f32_e32 v11, v33, v11
	v_fma_f32 v31, v34, 2.0, -v10
	v_mov_b32_e32 v34, v23
	v_fma_f32 v6, v6, 2.0, -v33
	v_fma_f32 v25, v33, 2.0, -v11
	v_mov_b32_e32 v33, v8
	v_fmac_f32_e32 v34, 0xbf3504f3, v31
	v_sub_f32_e32 v12, v26, v12
	v_sub_f32_e32 v13, v27, v13
	v_fmac_f32_e32 v33, 0xbf3504f3, v25
	v_fmac_f32_e32 v34, 0x3f3504f3, v25
	v_fma_f32 v25, v26, 2.0, -v12
	v_fma_f32 v26, v27, 2.0, -v13
	v_sub_f32_e32 v27, v4, v0
	v_sub_f32_e32 v14, v28, v14
	v_fmac_f32_e32 v33, 0xbf3504f3, v31
	v_sub_f32_e32 v31, v5, v1
	v_fma_f32 v0, v4, 2.0, -v27
	v_sub_f32_e32 v15, v29, v15
	v_fma_f32 v4, v28, 2.0, -v14
	;; [unrolled: 2-line block ×3, first 2 shown]
	v_fma_f32 v5, v29, 2.0, -v15
	v_sub_f32_e32 v29, v7, v3
	v_fma_f32 v2, v6, 2.0, -v28
	v_sub_f32_e32 v43, v25, v0
	;; [unrolled: 2-line block ×5, first 2 shown]
	v_fma_f32 v1, v4, 2.0, -v25
	v_fma_f32 v2, v5, 2.0, -v26
	v_sub_f32_e32 v1, v0, v1
	v_sub_f32_e32 v2, v6, v2
	v_fma_f32 v3, v0, 2.0, -v1
	v_fma_f32 v0, v21, 2.0, -v32
	;; [unrolled: 1-line block ×6, first 2 shown]
	v_mov_b32_e32 v6, v21
	v_mov_b32_e32 v5, v0
	v_fmac_f32_e32 v6, 0xbf6c835e, v8
	v_fmac_f32_e32 v5, 0xbf6c835e, v7
	;; [unrolled: 1-line block ×4, first 2 shown]
	v_fma_f32 v8, v21, 2.0, -v6
	v_mov_b32_e32 v21, v17
	v_fma_f32 v7, v0, 2.0, -v5
	v_mad_u32_u24 v0, v38, s4, v60
	v_fmac_f32_e32 v21, 0x3f3504f3, v9
	v_mov_b32_e32 v22, v16
	v_mov_b32_e32 v23, v19
	v_sub_f32_e32 v31, v12, v31
	v_add_f32_e32 v27, v13, v27
	s_barrier
	ds_write2_b64 v0, v[3:4], v[7:8] offset1:1
	v_fmac_f32_e32 v22, 0x3f3504f3, v39
	v_fmac_f32_e32 v21, 0xbf3504f3, v39
	;; [unrolled: 1-line block ×3, first 2 shown]
	v_mov_b32_e32 v39, v18
	v_fma_f32 v7, v12, 2.0, -v31
	v_fma_f32 v8, v13, 2.0, -v27
	v_sub_f32_e32 v29, v14, v29
	v_add_f32_e32 v28, v15, v28
	v_fmac_f32_e32 v22, 0x3f3504f3, v9
	v_fmac_f32_e32 v39, 0x3f3504f3, v10
	;; [unrolled: 1-line block ×3, first 2 shown]
	v_fma_f32 v9, v14, 2.0, -v29
	v_fma_f32 v10, v15, 2.0, -v28
	v_mov_b32_e32 v3, v7
	v_mov_b32_e32 v4, v8
	v_fmac_f32_e32 v39, 0x3f3504f3, v11
	v_fmac_f32_e32 v3, 0xbf3504f3, v9
	v_fmac_f32_e32 v4, 0xbf3504f3, v10
	v_fma_f32 v11, v17, 2.0, -v21
	v_fma_f32 v12, v16, 2.0, -v22
	v_fmac_f32_e32 v3, 0xbf3504f3, v10
	v_fmac_f32_e32 v4, 0x3f3504f3, v9
	v_fma_f32 v13, v19, 2.0, -v23
	v_fma_f32 v14, v18, 2.0, -v39
	v_mov_b32_e32 v9, v11
	v_mov_b32_e32 v10, v12
	v_fmac_f32_e32 v9, 0xbec3ef15, v13
	v_fmac_f32_e32 v10, 0xbec3ef15, v14
	v_fmac_f32_e32 v9, 0xbf6c835e, v14
	v_fmac_f32_e32 v10, 0x3f6c835e, v13
	v_mov_b32_e32 v13, v32
	v_mov_b32_e32 v14, v42
	v_fma_f32 v7, v7, 2.0, -v3
	v_fma_f32 v8, v8, 2.0, -v4
	;; [unrolled: 1-line block ×4, first 2 shown]
	v_fmac_f32_e32 v13, 0x3ec3ef15, v33
	v_fmac_f32_e32 v14, 0x3ec3ef15, v34
	ds_write2_b64 v0, v[7:8], v[11:12] offset0:2 offset1:3
	v_sub_f32_e32 v7, v43, v26
	v_add_f32_e32 v8, v44, v25
	v_fmac_f32_e32 v13, 0xbf6c835e, v34
	v_fmac_f32_e32 v14, 0x3f6c835e, v33
	v_fma_f32 v11, v43, 2.0, -v7
	v_fma_f32 v12, v44, 2.0, -v8
	;; [unrolled: 1-line block ×4, first 2 shown]
	ds_write2_b64 v0, v[11:12], v[15:16] offset0:4 offset1:5
	v_mov_b32_e32 v11, v31
	v_mov_b32_e32 v12, v27
	;; [unrolled: 1-line block ×4, first 2 shown]
	v_fmac_f32_e32 v11, 0x3f3504f3, v29
	v_fmac_f32_e32 v12, 0x3f3504f3, v28
	;; [unrolled: 1-line block ×8, first 2 shown]
	v_fma_f32 v15, v31, 2.0, -v11
	v_fma_f32 v16, v27, 2.0, -v12
	;; [unrolled: 1-line block ×4, first 2 shown]
	ds_write2_b64 v0, v[15:16], v[17:18] offset0:6 offset1:7
	ds_write2_b64 v0, v[1:2], v[5:6] offset0:8 offset1:9
	ds_write2_b64 v0, v[3:4], v[9:10] offset0:10 offset1:11
	ds_write2_b64 v0, v[7:8], v[13:14] offset0:12 offset1:13
	ds_write2_b64 v0, v[11:12], v[42:43] offset0:14 offset1:15
	v_add_u32_e32 v1, 0x400, v60
	s_waitcnt lgkmcnt(0)
	s_barrier
	ds_read2_b64 v[8:11], v1 offset0:32 offset1:128
	ds_read2_b64 v[20:23], v20 offset1:80
	v_add_u32_e32 v1, 0x1400, v60
	ds_read2_b64 v[16:19], v1 offset0:32 offset1:128
	ds_read2_b64 v[32:35], v35 offset1:80
	ds_read2_b64 v[24:27], v24 offset0:80 offset1:160
	ds_read_b64 v[58:59], v60 offset:9472
	ds_read2_b64 v[28:31], v30 offset0:80 offset1:160
	ds_read2_b64 v[12:15], v60 offset1:80
                                        ; implicit-def: $vgpr3
                                        ; implicit-def: $vgpr7
	s_and_saveexec_b64 s[4:5], vcc
	s_cbranch_execz .LBB0_21
; %bb.20:
	s_movk_i32 s6, 0xff88
	v_mad_i32_i24 v0, v38, s6, v0
	v_add_u32_e32 v0, 0x180, v0
	ds_read_b64 v[42:43], v60 offset:1920
	ds_read2st64_b64 v[4:7], v0 offset0:7 offset1:11
	ds_read2st64_b64 v[0:3], v0 offset0:15 offset1:19
.LBB0_21:
	s_or_b64 exec, exec, s[4:5]
	v_lshlrev_b32_e32 v39, 5, v38
	v_and_b32_e32 v61, 15, v38
	v_and_b32_e32 v39, 0x1e0, v39
	v_lshlrev_b32_e32 v62, 5, v61
	global_load_dwordx2 v[46:47], v39, s[12:13] offset:8
	global_load_dwordx2 v[44:45], v39, s[12:13] offset:24
	global_load_dwordx2 v[48:49], v39, s[12:13]
	global_load_dwordx2 v[50:51], v39, s[12:13] offset:16
	global_load_dwordx2 v[56:57], v39, s[12:13] offset:4
	;; [unrolled: 1-line block ×3, first 2 shown]
	global_load_dword v63, v62, s[12:13]
	global_load_dwordx2 v[54:55], v39, s[12:13] offset:12
	v_lshrrev_b32_e32 v62, 4, v38
	s_waitcnt vmcnt(0) lgkmcnt(0)
	s_barrier
	v_mul_f32_e32 v64, v47, v21
	v_mul_f32_e32 v65, v47, v20
	v_mul_f32_e32 v66, v47, v23
	v_mul_f32_e32 v68, v45, v33
	v_mul_f32_e32 v72, v49, v25
	v_mul_f32_e32 v73, v49, v24
	v_mul_f32_e32 v74, v49, v27
	v_mul_f32_e32 v75, v49, v26
	v_mul_f32_e32 v76, v51, v19
	v_mul_f32_e32 v77, v51, v18
	v_mul_f32_e32 v80, v51, v28
	v_mul_f32_e32 v82, v49, v11
	v_mul_f32_e32 v49, v49, v10
	v_mul_f32_e32 v67, v47, v22
	v_mul_f32_e32 v69, v45, v32
	v_mul_f32_e32 v78, v47, v17
	v_mul_f32_e32 v47, v47, v16
	v_mul_f32_e32 v79, v51, v29
	v_mul_f32_e32 v81, v31, v51
	v_mul_f32_e32 v51, v30, v51
	v_fma_f32 v20, v57, v20, -v64
	v_fmac_f32_e32 v65, v57, v21
	v_fma_f32 v21, v57, v22, -v66
	v_fma_f32 v22, v53, v32, -v68
	v_fmac_f32_e32 v73, v63, v25
	v_fma_f32 v25, v63, v26, -v74
	v_fma_f32 v26, v55, v18, -v76
	v_fmac_f32_e32 v77, v55, v19
	v_fmac_f32_e32 v80, v55, v29
	v_fma_f32 v29, v63, v10, -v82
	v_fmac_f32_e32 v49, v63, v11
	v_fmac_f32_e32 v69, v53, v33
	;; [unrolled: 1-line block ×3, first 2 shown]
	v_fma_f32 v32, v57, v16, -v78
	v_fmac_f32_e32 v47, v57, v17
	v_fma_f32 v27, v55, v28, -v79
	v_fma_f32 v28, v30, v55, -v81
	v_fmac_f32_e32 v51, v31, v55
	v_sub_f32_e32 v10, v29, v20
	v_sub_f32_e32 v11, v22, v26
	v_add_f32_e32 v16, v20, v26
	v_add_f32_e32 v17, v65, v77
	v_add_f32_e32 v30, v12, v29
	v_add_f32_e32 v31, v13, v49
	v_mul_f32_e32 v70, v45, v35
	v_fmac_f32_e32 v67, v57, v23
	v_sub_f32_e32 v18, v49, v65
	v_sub_f32_e32 v19, v69, v77
	v_add_f32_e32 v57, v10, v11
	v_fma_f32 v10, -0.5, v16, v12
	v_fma_f32 v11, -0.5, v17, v13
	v_add_f32_e32 v16, v30, v20
	v_add_f32_e32 v17, v31, v65
	v_mul_f32_e32 v71, v45, v34
	v_fma_f32 v23, v53, v34, -v70
	v_fma_f32 v24, v63, v24, -v72
	v_sub_f32_e32 v33, v49, v69
	v_sub_f32_e32 v34, v29, v22
	v_add_f32_e32 v63, v18, v19
	v_add_f32_e32 v18, v16, v26
	;; [unrolled: 1-line block ×3, first 2 shown]
	v_mov_b32_e32 v16, v10
	v_mov_b32_e32 v17, v11
	v_fmac_f32_e32 v71, v53, v35
	v_sub_f32_e32 v35, v65, v77
	v_sub_f32_e32 v55, v20, v26
	v_fmac_f32_e32 v16, 0x3f737871, v33
	v_fmac_f32_e32 v17, 0xbf737871, v34
	v_mul_u32_u24_e32 v30, 0x50, v62
	v_fmac_f32_e32 v16, 0x3f167918, v35
	v_fmac_f32_e32 v17, 0xbf167918, v55
	v_or_b32_e32 v30, v30, v61
	v_add_f32_e32 v18, v18, v22
	v_add_f32_e32 v19, v19, v69
	v_fmac_f32_e32 v16, 0x3e9e377a, v57
	v_fmac_f32_e32 v17, 0x3e9e377a, v63
	v_lshl_add_u32 v30, v30, 3, 0
	ds_write2_b64 v30, v[18:19], v[16:17] offset1:16
	v_add_f32_e32 v17, v29, v22
	v_sub_f32_e32 v16, v20, v29
	v_sub_f32_e32 v18, v26, v22
	v_fma_f32 v12, -0.5, v17, v12
	v_add_f32_e32 v18, v16, v18
	v_mov_b32_e32 v16, v12
	v_fmac_f32_e32 v16, 0xbf737871, v35
	v_fmac_f32_e32 v12, 0x3f737871, v35
	;; [unrolled: 1-line block ×6, first 2 shown]
	v_add_f32_e32 v17, v49, v69
	v_fmac_f32_e32 v10, 0xbf167918, v35
	v_fmac_f32_e32 v11, 0x3f167918, v55
	;; [unrolled: 1-line block ×4, first 2 shown]
	v_fma_f32 v13, -0.5, v17, v13
	v_sub_f32_e32 v17, v65, v49
	v_sub_f32_e32 v18, v77, v69
	v_fmac_f32_e32 v10, 0x3e9e377a, v57
	v_fmac_f32_e32 v11, 0x3e9e377a, v63
	v_add_f32_e32 v18, v17, v18
	v_mov_b32_e32 v17, v13
	ds_write_b64 v30, v[10:11] offset:512
	v_mul_f32_e32 v10, v59, v45
	v_fmac_f32_e32 v17, 0x3f737871, v55
	v_fmac_f32_e32 v13, 0xbf737871, v55
	v_fma_f32 v29, v58, v53, -v10
	v_sub_f32_e32 v10, v24, v21
	v_sub_f32_e32 v11, v23, v27
	v_fmac_f32_e32 v17, 0xbf167918, v34
	v_fmac_f32_e32 v13, 0x3f167918, v34
	v_add_f32_e32 v11, v10, v11
	v_add_f32_e32 v10, v21, v27
	v_fmac_f32_e32 v17, 0x3e9e377a, v18
	v_fmac_f32_e32 v13, 0x3e9e377a, v18
	v_fma_f32 v10, -0.5, v10, v14
	ds_write2_b64 v30, v[16:17], v[12:13] offset0:32 offset1:48
	v_sub_f32_e32 v13, v73, v71
	v_mov_b32_e32 v12, v10
	v_fmac_f32_e32 v12, 0x3f737871, v13
	v_sub_f32_e32 v17, v67, v80
	v_fmac_f32_e32 v10, 0xbf737871, v13
	v_fmac_f32_e32 v12, 0x3f167918, v17
	v_fmac_f32_e32 v10, 0xbf167918, v17
	v_add_f32_e32 v16, v24, v23
	v_fmac_f32_e32 v12, 0x3e9e377a, v11
	v_fmac_f32_e32 v10, 0x3e9e377a, v11
	v_add_f32_e32 v11, v14, v24
	v_fma_f32 v14, -0.5, v16, v14
	v_sub_f32_e32 v16, v21, v24
	v_sub_f32_e32 v18, v27, v23
	v_add_f32_e32 v18, v16, v18
	v_mov_b32_e32 v16, v14
	v_fmac_f32_e32 v16, 0xbf737871, v17
	v_fmac_f32_e32 v14, 0x3f737871, v17
	;; [unrolled: 1-line block ×4, first 2 shown]
	v_add_f32_e32 v11, v11, v21
	v_add_f32_e32 v13, v15, v73
	;; [unrolled: 1-line block ×4, first 2 shown]
	v_fmac_f32_e32 v16, 0x3e9e377a, v18
	v_fmac_f32_e32 v14, 0x3e9e377a, v18
	v_add_f32_e32 v13, v13, v80
	v_add_f32_e32 v18, v11, v23
	;; [unrolled: 1-line block ×4, first 2 shown]
	v_fma_f32 v11, -0.5, v11, v15
	v_sub_f32_e32 v13, v73, v67
	v_sub_f32_e32 v17, v71, v80
	;; [unrolled: 1-line block ×3, first 2 shown]
	v_add_f32_e32 v17, v13, v17
	v_mov_b32_e32 v13, v11
	v_sub_f32_e32 v21, v21, v27
	v_fmac_f32_e32 v13, 0xbf737871, v20
	v_fmac_f32_e32 v11, 0x3f737871, v20
	;; [unrolled: 1-line block ×6, first 2 shown]
	v_add_f32_e32 v17, v73, v71
	v_fmac_f32_e32 v15, -0.5, v17
	v_sub_f32_e32 v17, v67, v73
	v_sub_f32_e32 v22, v80, v71
	v_add_f32_e32 v22, v17, v22
	v_mov_b32_e32 v17, v15
	v_fmac_f32_e32 v17, 0x3f737871, v21
	v_fmac_f32_e32 v15, 0xbf737871, v21
	;; [unrolled: 1-line block ×4, first 2 shown]
	v_sub_f32_e32 v20, v25, v32
	v_sub_f32_e32 v21, v29, v28
	v_mul_f32_e32 v30, v58, v45
	v_add_f32_e32 v21, v20, v21
	v_add_f32_e32 v20, v32, v28
	v_fmac_f32_e32 v30, v59, v53
	v_fma_f32 v20, -0.5, v20, v8
	v_fmac_f32_e32 v17, 0x3e9e377a, v22
	v_fmac_f32_e32 v15, 0x3e9e377a, v22
	v_sub_f32_e32 v23, v75, v30
	v_mov_b32_e32 v22, v20
	v_fmac_f32_e32 v22, 0x3f737871, v23
	v_sub_f32_e32 v26, v47, v51
	v_fmac_f32_e32 v20, 0xbf737871, v23
	v_fmac_f32_e32 v22, 0x3f167918, v26
	;; [unrolled: 1-line block ×3, first 2 shown]
	v_add_f32_e32 v24, v25, v29
	v_fmac_f32_e32 v22, 0x3e9e377a, v21
	v_fmac_f32_e32 v20, 0x3e9e377a, v21
	v_add_f32_e32 v21, v8, v25
	v_fma_f32 v8, -0.5, v24, v8
	v_sub_f32_e32 v24, v32, v25
	v_sub_f32_e32 v27, v28, v29
	v_add_f32_e32 v27, v24, v27
	v_mov_b32_e32 v24, v8
	v_fmac_f32_e32 v24, 0xbf737871, v26
	v_fmac_f32_e32 v8, 0x3f737871, v26
	v_fmac_f32_e32 v24, 0x3f167918, v23
	v_fmac_f32_e32 v8, 0xbf167918, v23
	v_add_f32_e32 v21, v21, v32
	v_add_f32_e32 v23, v9, v75
	;; [unrolled: 1-line block ×7, first 2 shown]
	v_fmac_f32_e32 v24, 0x3e9e377a, v27
	v_fmac_f32_e32 v8, 0x3e9e377a, v27
	v_add_f32_e32 v27, v23, v30
	v_fma_f32 v21, -0.5, v21, v9
	v_sub_f32_e32 v29, v25, v29
	v_sub_f32_e32 v23, v75, v47
	;; [unrolled: 1-line block ×3, first 2 shown]
	v_add_f32_e32 v25, v23, v25
	v_mov_b32_e32 v23, v21
	v_sub_f32_e32 v28, v32, v28
	v_fmac_f32_e32 v23, 0xbf737871, v29
	v_fmac_f32_e32 v21, 0x3f737871, v29
	;; [unrolled: 1-line block ×6, first 2 shown]
	v_add_f32_e32 v25, v75, v30
	v_fmac_f32_e32 v9, -0.5, v25
	v_sub_f32_e32 v25, v47, v75
	v_sub_f32_e32 v30, v51, v30
	v_add_f32_e32 v30, v25, v30
	v_mov_b32_e32 v25, v9
	v_fmac_f32_e32 v25, 0x3f737871, v28
	v_fmac_f32_e32 v9, 0xbf737871, v28
	v_add_u32_e32 v28, 0x50, v38
	v_lshrrev_b32_e32 v28, 4, v28
	v_mul_u32_u24_e32 v28, 0x50, v28
	v_or_b32_e32 v28, v28, v61
	v_fmac_f32_e32 v25, 0xbf167918, v29
	v_fmac_f32_e32 v9, 0x3f167918, v29
	v_add_u32_e32 v29, 0xa0, v38
	v_lshl_add_u32 v28, v28, 3, 0
	ds_write2_b64 v28, v[18:19], v[12:13] offset1:16
	ds_write2_b64 v28, v[16:17], v[14:15] offset0:32 offset1:48
	ds_write_b64 v28, v[10:11] offset:512
	v_lshrrev_b32_e32 v10, 4, v29
	v_mul_u32_u24_e32 v10, 0x50, v10
	v_or_b32_e32 v10, v10, v61
	v_lshl_add_u32 v10, v10, 3, 0
	v_fmac_f32_e32 v25, 0x3e9e377a, v30
	v_fmac_f32_e32 v9, 0x3e9e377a, v30
	ds_write2_b64 v10, v[26:27], v[22:23] offset1:16
	ds_write2_b64 v10, v[24:25], v[8:9] offset0:32 offset1:48
	ds_write_b64 v10, v[20:21] offset:512
	s_and_saveexec_b64 s[4:5], vcc
	s_cbranch_execz .LBB0_23
; %bb.22:
	v_mov_b32_e32 v8, s13
	v_add_co_u32_e32 v9, vcc, s12, v39
	v_addc_co_u32_e32 v10, vcc, 0, v8, vcc
	v_add_co_u32_e32 v8, vcc, 24, v9
	v_addc_co_u32_e32 v9, vcc, 0, v10, vcc
	global_load_dword v8, v[8:9], off offset:4
	v_mul_f32_e32 v9, v6, v54
	v_mul_f32_e32 v11, v0, v52
	;; [unrolled: 1-line block ×6, first 2 shown]
	v_fmac_f32_e32 v9, v7, v46
	v_fmac_f32_e32 v11, v1, v50
	v_fma_f32 v7, v4, v48, -v12
	v_fma_f32 v4, v6, v46, -v13
	;; [unrolled: 1-line block ×3, first 2 shown]
	v_fmac_f32_e32 v10, v5, v48
	v_add_f32_e32 v0, v9, v11
	v_add_f32_e32 v19, v4, v6
	;; [unrolled: 1-line block ×4, first 2 shown]
	v_fma_f32 v1, -0.5, v0, v43
	v_fma_f32 v0, -0.5, v19, v42
	v_add_f32_e32 v19, v20, v4
	v_sub_f32_e32 v12, v9, v10
	v_sub_f32_e32 v14, v10, v9
	;; [unrolled: 1-line block ×3, first 2 shown]
	v_add_f32_e32 v9, v5, v9
	v_add_f32_e32 v9, v9, v11
	v_sub_f32_e32 v13, v4, v6
	v_sub_f32_e32 v16, v4, v7
	;; [unrolled: 1-line block ×3, first 2 shown]
	v_add_f32_e32 v19, v19, v6
	v_mov_b32_e32 v5, v1
	v_mov_b32_e32 v4, v0
	v_add_u32_e32 v15, 0x2000, v60
	s_waitcnt vmcnt(0)
	v_mul_f32_e32 v20, v2, v8
	v_mul_f32_e32 v8, v3, v8
	v_fmac_f32_e32 v20, v3, v44
	v_fma_f32 v2, v2, v44, -v8
	v_add_f32_e32 v22, v10, v20
	v_add_f32_e32 v23, v7, v2
	v_sub_f32_e32 v8, v11, v20
	v_sub_f32_e32 v21, v7, v2
	;; [unrolled: 1-line block ×3, first 2 shown]
	v_add_f32_e32 v3, v9, v20
	v_sub_f32_e32 v9, v6, v2
	v_sub_f32_e32 v10, v10, v20
	;; [unrolled: 1-line block ×3, first 2 shown]
	v_fma_f32 v7, -0.5, v22, v43
	v_fma_f32 v6, -0.5, v23, v42
	v_add_f32_e32 v12, v12, v8
	v_add_f32_e32 v11, v14, v11
	;; [unrolled: 1-line block ×3, first 2 shown]
	v_mov_b32_e32 v9, v7
	v_mov_b32_e32 v8, v6
	v_fmac_f32_e32 v1, 0xbf737871, v21
	v_fmac_f32_e32 v0, 0x3f737871, v10
	;; [unrolled: 1-line block ×7, first 2 shown]
	v_add_f32_e32 v16, v18, v20
	v_fmac_f32_e32 v4, 0xbf737871, v10
	v_fmac_f32_e32 v1, 0xbf167918, v13
	v_fmac_f32_e32 v0, 0x3f167918, v17
	v_fmac_f32_e32 v7, 0xbf167918, v21
	v_fmac_f32_e32 v6, 0x3f167918, v10
	v_fmac_f32_e32 v9, 0x3f167918, v21
	v_fmac_f32_e32 v8, 0xbf167918, v10
	v_add_f32_e32 v2, v19, v2
	v_fmac_f32_e32 v5, 0x3f167918, v13
	v_fmac_f32_e32 v4, 0xbf167918, v17
	;; [unrolled: 1-line block ×10, first 2 shown]
	ds_write2_b64 v15, v[2:3], v[0:1] offset0:176 offset1:192
	ds_write2_b64 v15, v[6:7], v[8:9] offset0:208 offset1:224
	ds_write_b64 v60, v[4:5] offset:10112
.LBB0_23:
	s_or_b64 exec, exec, s[4:5]
	v_mul_u32_u24_e32 v0, 15, v38
	v_lshlrev_b32_e32 v28, 3, v0
	s_waitcnt lgkmcnt(0)
	s_barrier
	global_load_dwordx4 v[0:3], v28, s[12:13] offset:512
	global_load_dwordx4 v[4:7], v28, s[12:13] offset:528
	;; [unrolled: 1-line block ×7, first 2 shown]
	global_load_dwordx2 v[58:59], v28, s[12:13] offset:624
	ds_read2_b64 v[28:31], v60 offset1:80
	ds_read2_b64 v[32:35], v60 offset0:160 offset1:240
	v_add_u32_e32 v39, 0x800, v60
	v_add_u32_e32 v69, 0xc00, v60
	v_add_u32_e32 v70, 0x1000, v60
	v_add_u32_e32 v71, 0x1800, v60
	v_add_u32_e32 v72, 0x1c00, v60
	v_add_u32_e32 v73, 0x2000, v60
	ds_read2_b64 v[42:45], v39 offset0:64 offset1:144
	ds_read2_b64 v[46:49], v69 offset0:96 offset1:176
	;; [unrolled: 1-line block ×6, first 2 shown]
	s_waitcnt vmcnt(0) lgkmcnt(0)
	s_barrier
	v_mul_f32_e32 v74, v1, v31
	v_mul_f32_e32 v1, v1, v30
	;; [unrolled: 1-line block ×9, first 2 shown]
	v_fma_f32 v30, v0, v30, -v74
	v_fmac_f32_e32 v1, v0, v31
	v_fma_f32 v0, v2, v32, -v75
	v_fmac_f32_e32 v3, v2, v33
	v_mul_f32_e32 v2, v44, v9
	v_mul_f32_e32 v9, v47, v11
	v_mul_f32_e32 v11, v46, v11
	v_mul_f32_e32 v31, v49, v13
	v_fma_f32 v32, v4, v34, -v76
	v_fmac_f32_e32 v5, v4, v35
	v_mul_f32_e32 v4, v48, v13
	v_mul_f32_e32 v13, v51, v15
	v_mul_f32_e32 v15, v50, v15
	v_mul_f32_e32 v33, v53, v17
	;; [unrolled: 6-line block ×4, first 2 shown]
	v_fma_f32 v9, v46, v10, -v9
	v_fmac_f32_e32 v11, v47, v10
	v_mul_f32_e32 v10, v63, v25
	v_mul_f32_e32 v25, v66, v27
	;; [unrolled: 1-line block ×3, first 2 shown]
	v_fma_f32 v31, v48, v12, -v31
	v_fmac_f32_e32 v4, v49, v12
	v_fma_f32 v12, v50, v14, -v13
	v_fmac_f32_e32 v15, v51, v14
	;; [unrolled: 2-line block ×7, first 2 shown]
	v_mul_f32_e32 v44, v68, v59
	v_sub_f32_e32 v12, v28, v12
	v_sub_f32_e32 v15, v29, v15
	;; [unrolled: 1-line block ×8, first 2 shown]
	v_fma_f32 v18, v63, v24, -v43
	v_fmac_f32_e32 v10, v64, v24
	v_fma_f32 v21, v67, v58, -v44
	v_mul_f32_e32 v22, v67, v59
	v_fma_f32 v24, v28, 2.0, -v12
	v_fma_f32 v25, v29, 2.0, -v15
	v_fma_f32 v26, v34, 2.0, -v17
	v_fma_f32 v7, v7, 2.0, -v23
	v_fma_f32 v0, v0, 2.0, -v14
	v_fma_f32 v3, v3, 2.0, -v19
	v_fma_f32 v9, v9, 2.0, -v20
	v_fma_f32 v11, v11, 2.0, -v27
	v_add_f32_e32 v17, v15, v17
	v_fmac_f32_e32 v22, v68, v58
	v_sub_f32_e32 v13, v30, v13
	v_sub_f32_e32 v6, v1, v6
	;; [unrolled: 1-line block ×8, first 2 shown]
	v_fma_f32 v15, v15, 2.0, -v17
	v_sub_f32_e32 v9, v0, v9
	v_sub_f32_e32 v11, v3, v11
	v_add_f32_e32 v20, v19, v20
	v_fma_f32 v28, v30, 2.0, -v13
	v_fma_f32 v29, v42, 2.0, -v18
	;; [unrolled: 1-line block ×3, first 2 shown]
	v_sub_f32_e32 v8, v5, v8
	v_fma_f32 v30, v32, 2.0, -v16
	v_sub_f32_e32 v22, v4, v22
	v_fma_f32 v31, v31, 2.0, -v21
	v_fma_f32 v24, v24, 2.0, -v26
	;; [unrolled: 1-line block ×3, first 2 shown]
	v_sub_f32_e32 v23, v12, v23
	v_fma_f32 v0, v0, 2.0, -v9
	v_fma_f32 v3, v3, 2.0, -v11
	v_sub_f32_e32 v27, v14, v27
	v_fma_f32 v19, v19, 2.0, -v20
	v_sub_f32_e32 v10, v13, v10
	v_add_f32_e32 v18, v6, v18
	v_mov_b32_e32 v34, v15
	v_mov_b32_e32 v44, v17
	v_fma_f32 v1, v1, 2.0, -v6
	v_fma_f32 v4, v4, 2.0, -v22
	;; [unrolled: 1-line block ×4, first 2 shown]
	v_sub_f32_e32 v29, v28, v29
	v_fma_f32 v13, v13, 2.0, -v10
	v_fma_f32 v6, v6, 2.0, -v18
	v_sub_f32_e32 v31, v30, v31
	v_sub_f32_e32 v22, v16, v22
	v_add_f32_e32 v21, v8, v21
	v_sub_f32_e32 v32, v24, v0
	v_sub_f32_e32 v33, v25, v3
	v_fmac_f32_e32 v34, 0xbf3504f3, v19
	v_sub_f32_e32 v35, v26, v11
	v_mov_b32_e32 v43, v23
	v_fmac_f32_e32 v44, 0x3f3504f3, v20
	v_fma_f32 v5, v5, 2.0, -v8
	v_sub_f32_e32 v2, v1, v2
	v_fma_f32 v28, v28, 2.0, -v29
	v_fma_f32 v30, v30, 2.0, -v31
	;; [unrolled: 1-line block ×6, first 2 shown]
	v_mov_b32_e32 v25, v12
	v_fmac_f32_e32 v34, 0x3f3504f3, v14
	v_add_f32_e32 v42, v7, v9
	v_fma_f32 v11, v26, 2.0, -v35
	v_fmac_f32_e32 v43, 0x3f3504f3, v27
	v_fmac_f32_e32 v44, 0x3f3504f3, v27
	v_mov_b32_e32 v26, v13
	v_mov_b32_e32 v27, v6
	v_sub_f32_e32 v4, v5, v4
	v_fmac_f32_e32 v25, 0xbf3504f3, v14
	v_fma_f32 v14, v15, 2.0, -v34
	v_fma_f32 v15, v7, 2.0, -v42
	v_fmac_f32_e32 v43, 0xbf3504f3, v20
	v_sub_f32_e32 v20, v28, v30
	v_fmac_f32_e32 v26, 0xbf3504f3, v16
	v_fmac_f32_e32 v27, 0xbf3504f3, v8
	v_add_f32_e32 v30, v2, v31
	v_mov_b32_e32 v45, v18
	v_fma_f32 v0, v28, 2.0, -v20
	v_fmac_f32_e32 v26, 0xbf3504f3, v8
	v_fmac_f32_e32 v27, 0x3f3504f3, v16
	v_sub_f32_e32 v28, v29, v4
	v_fma_f32 v16, v2, 2.0, -v30
	v_mov_b32_e32 v31, v10
	v_fmac_f32_e32 v45, 0x3f3504f3, v21
	v_mov_b32_e32 v9, v15
	v_fma_f32 v17, v17, 2.0, -v44
	v_fma_f32 v7, v13, 2.0, -v26
	;; [unrolled: 1-line block ×3, first 2 shown]
	v_fmac_f32_e32 v31, 0x3f3504f3, v22
	v_fmac_f32_e32 v45, 0x3f3504f3, v22
	v_mov_b32_e32 v8, v11
	v_fmac_f32_e32 v9, 0xbf3504f3, v16
	v_fmac_f32_e32 v31, 0xbf3504f3, v21
	v_fma_f32 v18, v18, 2.0, -v45
	v_fmac_f32_e32 v8, 0xbf3504f3, v13
	v_fmac_f32_e32 v9, 0x3f3504f3, v13
	v_mov_b32_e32 v13, v17
	v_fma_f32 v21, v10, 2.0, -v31
	v_fmac_f32_e32 v13, 0xbec3ef15, v18
	v_fmac_f32_e32 v25, 0xbf3504f3, v19
	;; [unrolled: 1-line block ×4, first 2 shown]
	v_fma_f32 v1, v1, 2.0, -v2
	v_fma_f32 v5, v5, 2.0, -v4
	;; [unrolled: 1-line block ×6, first 2 shown]
	v_add_f32_e32 v17, v33, v20
	v_mov_b32_e32 v20, v25
	v_fma_f32 v19, v23, 2.0, -v43
	v_sub_f32_e32 v23, v1, v5
	v_mov_b32_e32 v4, v12
	v_fmac_f32_e32 v20, 0x3ec3ef15, v26
	v_fma_f32 v1, v1, 2.0, -v23
	v_fma_f32 v6, v6, 2.0, -v27
	v_fmac_f32_e32 v4, 0xbf6c835e, v7
	v_fmac_f32_e32 v20, 0xbf6c835e, v27
	v_sub_f32_e32 v0, v3, v0
	v_sub_f32_e32 v1, v24, v1
	v_mov_b32_e32 v5, v14
	v_fmac_f32_e32 v4, 0xbec3ef15, v6
	v_fma_f32 v22, v25, 2.0, -v20
	v_mov_b32_e32 v25, v42
	v_fma_f32 v2, v3, 2.0, -v0
	v_fma_f32 v3, v24, 2.0, -v1
	v_fmac_f32_e32 v5, 0xbf6c835e, v6
	v_fma_f32 v6, v12, 2.0, -v4
	v_mov_b32_e32 v12, v19
	v_mov_b32_e32 v24, v35
	v_fmac_f32_e32 v25, 0x3f3504f3, v30
	v_fmac_f32_e32 v12, 0xbec3ef15, v21
	v_mov_b32_e32 v21, v34
	v_fmac_f32_e32 v24, 0x3f3504f3, v28
	v_fmac_f32_e32 v25, 0x3f3504f3, v28
	v_mov_b32_e32 v28, v43
	v_mov_b32_e32 v29, v44
	v_fmac_f32_e32 v5, 0x3ec3ef15, v7
	v_fmac_f32_e32 v21, 0x3ec3ef15, v27
	;; [unrolled: 1-line block ×4, first 2 shown]
	v_fma_f32 v7, v14, 2.0, -v5
	v_fmac_f32_e32 v12, 0xbf6c835e, v18
	v_sub_f32_e32 v16, v32, v23
	v_fmac_f32_e32 v21, 0x3f6c835e, v26
	v_fmac_f32_e32 v24, 0xbf3504f3, v30
	;; [unrolled: 1-line block ×4, first 2 shown]
	v_fma_f32 v14, v19, 2.0, -v12
	v_fma_f32 v18, v32, 2.0, -v16
	v_fma_f32 v19, v33, 2.0, -v17
	v_fma_f32 v23, v34, 2.0, -v21
	v_fma_f32 v26, v35, 2.0, -v24
	v_fma_f32 v27, v42, 2.0, -v25
	v_fma_f32 v30, v43, 2.0, -v28
	v_fma_f32 v31, v44, 2.0, -v29
	ds_write2_b64 v60, v[2:3], v[6:7] offset1:80
	ds_write2_b64 v60, v[10:11], v[14:15] offset0:160 offset1:240
	ds_write2_b64 v39, v[18:19], v[22:23] offset0:64 offset1:144
	;; [unrolled: 1-line block ×7, first 2 shown]
	s_waitcnt lgkmcnt(0)
	s_barrier
	s_and_saveexec_b64 s[4:5], s[0:1]
	s_cbranch_execz .LBB0_25
; %bb.24:
	v_mul_lo_u32 v0, s3, v40
	v_mul_lo_u32 v1, s2, v41
	v_mad_u64_u32 v[4:5], s[0:1], s2, v40, 0
	v_mov_b32_e32 v7, s11
	v_lshl_add_u32 v6, v38, 3, 0
	v_add3_u32 v5, v5, v1, v0
	v_lshlrev_b64 v[4:5], 3, v[4:5]
	v_mov_b32_e32 v39, 0
	v_add_co_u32_e32 v8, vcc, s10, v4
	v_addc_co_u32_e32 v7, vcc, v7, v5, vcc
	v_lshlrev_b64 v[4:5], 3, v[36:37]
	ds_read2_b64 v[0:3], v6 offset1:80
	v_add_co_u32_e32 v8, vcc, v8, v4
	v_addc_co_u32_e32 v7, vcc, v7, v5, vcc
	v_lshlrev_b64 v[4:5], 3, v[38:39]
	v_add_co_u32_e32 v4, vcc, v8, v4
	v_addc_co_u32_e32 v5, vcc, v7, v5, vcc
	s_waitcnt lgkmcnt(0)
	global_store_dwordx2 v[4:5], v[0:1], off
	v_add_u32_e32 v0, 0x50, v38
	v_mov_b32_e32 v1, v39
	v_lshlrev_b64 v[0:1], 3, v[0:1]
	v_add_u32_e32 v4, 0xa0, v38
	v_add_co_u32_e32 v0, vcc, v8, v0
	v_addc_co_u32_e32 v1, vcc, v7, v1, vcc
	global_store_dwordx2 v[0:1], v[2:3], off
	v_mov_b32_e32 v5, v39
	ds_read2_b64 v[0:3], v6 offset0:160 offset1:240
	v_lshlrev_b64 v[4:5], 3, v[4:5]
	v_add_co_u32_e32 v4, vcc, v8, v4
	v_addc_co_u32_e32 v5, vcc, v7, v5, vcc
	s_waitcnt lgkmcnt(0)
	global_store_dwordx2 v[4:5], v[0:1], off
	v_add_u32_e32 v0, 0xf0, v38
	v_mov_b32_e32 v1, v39
	v_lshlrev_b64 v[0:1], 3, v[0:1]
	v_add_u32_e32 v4, 0x140, v38
	v_add_co_u32_e32 v0, vcc, v8, v0
	v_addc_co_u32_e32 v1, vcc, v7, v1, vcc
	global_store_dwordx2 v[0:1], v[2:3], off
	v_add_u32_e32 v0, 0x800, v6
	v_mov_b32_e32 v5, v39
	ds_read2_b64 v[0:3], v0 offset0:64 offset1:144
	v_lshlrev_b64 v[4:5], 3, v[4:5]
	v_add_co_u32_e32 v4, vcc, v8, v4
	v_addc_co_u32_e32 v5, vcc, v7, v5, vcc
	s_waitcnt lgkmcnt(0)
	global_store_dwordx2 v[4:5], v[0:1], off
	v_add_u32_e32 v0, 0x190, v38
	v_mov_b32_e32 v1, v39
	v_lshlrev_b64 v[0:1], 3, v[0:1]
	v_add_u32_e32 v4, 0x1e0, v38
	v_add_co_u32_e32 v0, vcc, v8, v0
	v_addc_co_u32_e32 v1, vcc, v7, v1, vcc
	global_store_dwordx2 v[0:1], v[2:3], off
	v_add_u32_e32 v0, 0xc00, v6
	;; [unrolled: 15-line block ×6, first 2 shown]
	v_mov_b32_e32 v5, v39
	ds_read2_b64 v[0:3], v0 offset0:96 offset1:176
	v_lshlrev_b64 v[4:5], 3, v[4:5]
	v_add_u32_e32 v38, 0x4b0, v38
	v_add_co_u32_e32 v4, vcc, v8, v4
	v_addc_co_u32_e32 v5, vcc, v7, v5, vcc
	s_waitcnt lgkmcnt(0)
	global_store_dwordx2 v[4:5], v[0:1], off
	v_lshlrev_b64 v[0:1], 3, v[38:39]
	v_add_co_u32_e32 v0, vcc, v8, v0
	v_addc_co_u32_e32 v1, vcc, v7, v1, vcc
	global_store_dwordx2 v[0:1], v[2:3], off
.LBB0_25:
	s_endpgm
	.section	.rodata,"a",@progbits
	.p2align	6, 0x0
	.amdhsa_kernel fft_rtc_fwd_len1280_factors_16_5_16_wgs_80_tpt_80_halfLds_sp_op_CI_CI_unitstride_sbrr_C2R_dirReg
		.amdhsa_group_segment_fixed_size 0
		.amdhsa_private_segment_fixed_size 0
		.amdhsa_kernarg_size 104
		.amdhsa_user_sgpr_count 6
		.amdhsa_user_sgpr_private_segment_buffer 1
		.amdhsa_user_sgpr_dispatch_ptr 0
		.amdhsa_user_sgpr_queue_ptr 0
		.amdhsa_user_sgpr_kernarg_segment_ptr 1
		.amdhsa_user_sgpr_dispatch_id 0
		.amdhsa_user_sgpr_flat_scratch_init 0
		.amdhsa_user_sgpr_private_segment_size 0
		.amdhsa_uses_dynamic_stack 0
		.amdhsa_system_sgpr_private_segment_wavefront_offset 0
		.amdhsa_system_sgpr_workgroup_id_x 1
		.amdhsa_system_sgpr_workgroup_id_y 0
		.amdhsa_system_sgpr_workgroup_id_z 0
		.amdhsa_system_sgpr_workgroup_info 0
		.amdhsa_system_vgpr_workitem_id 0
		.amdhsa_next_free_vgpr 83
		.amdhsa_next_free_sgpr 28
		.amdhsa_reserve_vcc 1
		.amdhsa_reserve_flat_scratch 0
		.amdhsa_float_round_mode_32 0
		.amdhsa_float_round_mode_16_64 0
		.amdhsa_float_denorm_mode_32 3
		.amdhsa_float_denorm_mode_16_64 3
		.amdhsa_dx10_clamp 1
		.amdhsa_ieee_mode 1
		.amdhsa_fp16_overflow 0
		.amdhsa_exception_fp_ieee_invalid_op 0
		.amdhsa_exception_fp_denorm_src 0
		.amdhsa_exception_fp_ieee_div_zero 0
		.amdhsa_exception_fp_ieee_overflow 0
		.amdhsa_exception_fp_ieee_underflow 0
		.amdhsa_exception_fp_ieee_inexact 0
		.amdhsa_exception_int_div_zero 0
	.end_amdhsa_kernel
	.text
.Lfunc_end0:
	.size	fft_rtc_fwd_len1280_factors_16_5_16_wgs_80_tpt_80_halfLds_sp_op_CI_CI_unitstride_sbrr_C2R_dirReg, .Lfunc_end0-fft_rtc_fwd_len1280_factors_16_5_16_wgs_80_tpt_80_halfLds_sp_op_CI_CI_unitstride_sbrr_C2R_dirReg
                                        ; -- End function
	.section	.AMDGPU.csdata,"",@progbits
; Kernel info:
; codeLenInByte = 8756
; NumSgprs: 32
; NumVgprs: 83
; ScratchSize: 0
; MemoryBound: 0
; FloatMode: 240
; IeeeMode: 1
; LDSByteSize: 0 bytes/workgroup (compile time only)
; SGPRBlocks: 3
; VGPRBlocks: 20
; NumSGPRsForWavesPerEU: 32
; NumVGPRsForWavesPerEU: 83
; Occupancy: 3
; WaveLimiterHint : 1
; COMPUTE_PGM_RSRC2:SCRATCH_EN: 0
; COMPUTE_PGM_RSRC2:USER_SGPR: 6
; COMPUTE_PGM_RSRC2:TRAP_HANDLER: 0
; COMPUTE_PGM_RSRC2:TGID_X_EN: 1
; COMPUTE_PGM_RSRC2:TGID_Y_EN: 0
; COMPUTE_PGM_RSRC2:TGID_Z_EN: 0
; COMPUTE_PGM_RSRC2:TIDIG_COMP_CNT: 0
	.type	__hip_cuid_2f622112e4fb00d2,@object ; @__hip_cuid_2f622112e4fb00d2
	.section	.bss,"aw",@nobits
	.globl	__hip_cuid_2f622112e4fb00d2
__hip_cuid_2f622112e4fb00d2:
	.byte	0                               ; 0x0
	.size	__hip_cuid_2f622112e4fb00d2, 1

	.ident	"AMD clang version 19.0.0git (https://github.com/RadeonOpenCompute/llvm-project roc-6.4.0 25133 c7fe45cf4b819c5991fe208aaa96edf142730f1d)"
	.section	".note.GNU-stack","",@progbits
	.addrsig
	.addrsig_sym __hip_cuid_2f622112e4fb00d2
	.amdgpu_metadata
---
amdhsa.kernels:
  - .args:
      - .actual_access:  read_only
        .address_space:  global
        .offset:         0
        .size:           8
        .value_kind:     global_buffer
      - .offset:         8
        .size:           8
        .value_kind:     by_value
      - .actual_access:  read_only
        .address_space:  global
        .offset:         16
        .size:           8
        .value_kind:     global_buffer
      - .actual_access:  read_only
        .address_space:  global
        .offset:         24
        .size:           8
        .value_kind:     global_buffer
      - .actual_access:  read_only
        .address_space:  global
        .offset:         32
        .size:           8
        .value_kind:     global_buffer
      - .offset:         40
        .size:           8
        .value_kind:     by_value
      - .actual_access:  read_only
        .address_space:  global
        .offset:         48
        .size:           8
        .value_kind:     global_buffer
      - .actual_access:  read_only
        .address_space:  global
        .offset:         56
        .size:           8
        .value_kind:     global_buffer
      - .offset:         64
        .size:           4
        .value_kind:     by_value
      - .actual_access:  read_only
        .address_space:  global
        .offset:         72
        .size:           8
        .value_kind:     global_buffer
      - .actual_access:  read_only
        .address_space:  global
        .offset:         80
        .size:           8
        .value_kind:     global_buffer
      - .actual_access:  read_only
        .address_space:  global
        .offset:         88
        .size:           8
        .value_kind:     global_buffer
      - .actual_access:  write_only
        .address_space:  global
        .offset:         96
        .size:           8
        .value_kind:     global_buffer
    .group_segment_fixed_size: 0
    .kernarg_segment_align: 8
    .kernarg_segment_size: 104
    .language:       OpenCL C
    .language_version:
      - 2
      - 0
    .max_flat_workgroup_size: 80
    .name:           fft_rtc_fwd_len1280_factors_16_5_16_wgs_80_tpt_80_halfLds_sp_op_CI_CI_unitstride_sbrr_C2R_dirReg
    .private_segment_fixed_size: 0
    .sgpr_count:     32
    .sgpr_spill_count: 0
    .symbol:         fft_rtc_fwd_len1280_factors_16_5_16_wgs_80_tpt_80_halfLds_sp_op_CI_CI_unitstride_sbrr_C2R_dirReg.kd
    .uniform_work_group_size: 1
    .uses_dynamic_stack: false
    .vgpr_count:     83
    .vgpr_spill_count: 0
    .wavefront_size: 64
amdhsa.target:   amdgcn-amd-amdhsa--gfx906
amdhsa.version:
  - 1
  - 2
...

	.end_amdgpu_metadata
